;; amdgpu-corpus repo=ROCm/rocFFT kind=compiled arch=gfx1030 opt=O3
	.text
	.amdgcn_target "amdgcn-amd-amdhsa--gfx1030"
	.amdhsa_code_object_version 6
	.protected	fft_rtc_fwd_len1280_factors_16_5_16_wgs_80_tpt_80_halfLds_dp_op_CI_CI_unitstride_sbrr_C2R_dirReg ; -- Begin function fft_rtc_fwd_len1280_factors_16_5_16_wgs_80_tpt_80_halfLds_dp_op_CI_CI_unitstride_sbrr_C2R_dirReg
	.globl	fft_rtc_fwd_len1280_factors_16_5_16_wgs_80_tpt_80_halfLds_dp_op_CI_CI_unitstride_sbrr_C2R_dirReg
	.p2align	8
	.type	fft_rtc_fwd_len1280_factors_16_5_16_wgs_80_tpt_80_halfLds_dp_op_CI_CI_unitstride_sbrr_C2R_dirReg,@function
fft_rtc_fwd_len1280_factors_16_5_16_wgs_80_tpt_80_halfLds_dp_op_CI_CI_unitstride_sbrr_C2R_dirReg: ; @fft_rtc_fwd_len1280_factors_16_5_16_wgs_80_tpt_80_halfLds_dp_op_CI_CI_unitstride_sbrr_C2R_dirReg
; %bb.0:
	s_clause 0x2
	s_load_dwordx4 s[12:15], s[4:5], 0x0
	s_load_dwordx4 s[8:11], s[4:5], 0x58
	;; [unrolled: 1-line block ×3, first 2 shown]
	v_mul_u32_u24_e32 v1, 0x334, v0
	v_mov_b32_e32 v3, 0
	v_add_nc_u32_sdwa v5, s6, v1 dst_sel:DWORD dst_unused:UNUSED_PAD src0_sel:DWORD src1_sel:WORD_1
	v_mov_b32_e32 v1, 0
	v_mov_b32_e32 v6, v3
	v_mov_b32_e32 v2, 0
	s_waitcnt lgkmcnt(0)
	v_cmp_lt_u64_e64 s0, s[14:15], 2
	s_and_b32 vcc_lo, exec_lo, s0
	s_cbranch_vccnz .LBB0_8
; %bb.1:
	s_load_dwordx2 s[0:1], s[4:5], 0x10
	v_mov_b32_e32 v1, 0
	v_mov_b32_e32 v2, 0
	s_add_u32 s2, s18, 8
	s_addc_u32 s3, s19, 0
	s_add_u32 s6, s16, 8
	s_addc_u32 s7, s17, 0
	v_mov_b32_e32 v109, v2
	v_mov_b32_e32 v108, v1
	s_mov_b64 s[22:23], 1
	s_waitcnt lgkmcnt(0)
	s_add_u32 s20, s0, 8
	s_addc_u32 s21, s1, 0
.LBB0_2:                                ; =>This Inner Loop Header: Depth=1
	s_load_dwordx2 s[24:25], s[20:21], 0x0
                                        ; implicit-def: $vgpr112_vgpr113
	s_mov_b32 s0, exec_lo
	s_waitcnt lgkmcnt(0)
	v_or_b32_e32 v4, s25, v6
	v_cmpx_ne_u64_e32 0, v[3:4]
	s_xor_b32 s1, exec_lo, s0
	s_cbranch_execz .LBB0_4
; %bb.3:                                ;   in Loop: Header=BB0_2 Depth=1
	v_cvt_f32_u32_e32 v4, s24
	v_cvt_f32_u32_e32 v7, s25
	s_sub_u32 s0, 0, s24
	s_subb_u32 s26, 0, s25
	v_fmac_f32_e32 v4, 0x4f800000, v7
	v_rcp_f32_e32 v4, v4
	v_mul_f32_e32 v4, 0x5f7ffffc, v4
	v_mul_f32_e32 v7, 0x2f800000, v4
	v_trunc_f32_e32 v7, v7
	v_fmac_f32_e32 v4, 0xcf800000, v7
	v_cvt_u32_f32_e32 v7, v7
	v_cvt_u32_f32_e32 v4, v4
	v_mul_lo_u32 v8, s0, v7
	v_mul_hi_u32 v9, s0, v4
	v_mul_lo_u32 v10, s26, v4
	v_add_nc_u32_e32 v8, v9, v8
	v_mul_lo_u32 v9, s0, v4
	v_add_nc_u32_e32 v8, v8, v10
	v_mul_hi_u32 v10, v4, v9
	v_mul_lo_u32 v11, v4, v8
	v_mul_hi_u32 v12, v4, v8
	v_mul_hi_u32 v13, v7, v9
	v_mul_lo_u32 v9, v7, v9
	v_mul_hi_u32 v14, v7, v8
	v_mul_lo_u32 v8, v7, v8
	v_add_co_u32 v10, vcc_lo, v10, v11
	v_add_co_ci_u32_e32 v11, vcc_lo, 0, v12, vcc_lo
	v_add_co_u32 v9, vcc_lo, v10, v9
	v_add_co_ci_u32_e32 v9, vcc_lo, v11, v13, vcc_lo
	v_add_co_ci_u32_e32 v10, vcc_lo, 0, v14, vcc_lo
	v_add_co_u32 v8, vcc_lo, v9, v8
	v_add_co_ci_u32_e32 v9, vcc_lo, 0, v10, vcc_lo
	v_add_co_u32 v4, vcc_lo, v4, v8
	v_add_co_ci_u32_e32 v7, vcc_lo, v7, v9, vcc_lo
	v_mul_hi_u32 v8, s0, v4
	v_mul_lo_u32 v10, s26, v4
	v_mul_lo_u32 v9, s0, v7
	v_add_nc_u32_e32 v8, v8, v9
	v_mul_lo_u32 v9, s0, v4
	v_add_nc_u32_e32 v8, v8, v10
	v_mul_hi_u32 v10, v4, v9
	v_mul_lo_u32 v11, v4, v8
	v_mul_hi_u32 v12, v4, v8
	v_mul_hi_u32 v13, v7, v9
	v_mul_lo_u32 v9, v7, v9
	v_mul_hi_u32 v14, v7, v8
	v_mul_lo_u32 v8, v7, v8
	v_add_co_u32 v10, vcc_lo, v10, v11
	v_add_co_ci_u32_e32 v11, vcc_lo, 0, v12, vcc_lo
	v_add_co_u32 v9, vcc_lo, v10, v9
	v_add_co_ci_u32_e32 v9, vcc_lo, v11, v13, vcc_lo
	v_add_co_ci_u32_e32 v10, vcc_lo, 0, v14, vcc_lo
	v_add_co_u32 v8, vcc_lo, v9, v8
	v_add_co_ci_u32_e32 v9, vcc_lo, 0, v10, vcc_lo
	v_add_co_u32 v4, vcc_lo, v4, v8
	v_add_co_ci_u32_e32 v11, vcc_lo, v7, v9, vcc_lo
	v_mul_hi_u32 v13, v5, v4
	v_mad_u64_u32 v[9:10], null, v6, v4, 0
	v_mad_u64_u32 v[7:8], null, v5, v11, 0
	;; [unrolled: 1-line block ×3, first 2 shown]
	v_add_co_u32 v4, vcc_lo, v13, v7
	v_add_co_ci_u32_e32 v7, vcc_lo, 0, v8, vcc_lo
	v_add_co_u32 v4, vcc_lo, v4, v9
	v_add_co_ci_u32_e32 v4, vcc_lo, v7, v10, vcc_lo
	v_add_co_ci_u32_e32 v7, vcc_lo, 0, v12, vcc_lo
	v_add_co_u32 v4, vcc_lo, v4, v11
	v_add_co_ci_u32_e32 v9, vcc_lo, 0, v7, vcc_lo
	v_mul_lo_u32 v10, s25, v4
	v_mad_u64_u32 v[7:8], null, s24, v4, 0
	v_mul_lo_u32 v11, s24, v9
	v_sub_co_u32 v7, vcc_lo, v5, v7
	v_add3_u32 v8, v8, v11, v10
	v_sub_nc_u32_e32 v10, v6, v8
	v_subrev_co_ci_u32_e64 v10, s0, s25, v10, vcc_lo
	v_add_co_u32 v11, s0, v4, 2
	v_add_co_ci_u32_e64 v12, s0, 0, v9, s0
	v_sub_co_u32 v13, s0, v7, s24
	v_sub_co_ci_u32_e32 v8, vcc_lo, v6, v8, vcc_lo
	v_subrev_co_ci_u32_e64 v10, s0, 0, v10, s0
	v_cmp_le_u32_e32 vcc_lo, s24, v13
	v_cmp_eq_u32_e64 s0, s25, v8
	v_cndmask_b32_e64 v13, 0, -1, vcc_lo
	v_cmp_le_u32_e32 vcc_lo, s25, v10
	v_cndmask_b32_e64 v14, 0, -1, vcc_lo
	v_cmp_le_u32_e32 vcc_lo, s24, v7
	;; [unrolled: 2-line block ×3, first 2 shown]
	v_cndmask_b32_e64 v15, 0, -1, vcc_lo
	v_cmp_eq_u32_e32 vcc_lo, s25, v10
	v_cndmask_b32_e64 v7, v15, v7, s0
	v_cndmask_b32_e32 v10, v14, v13, vcc_lo
	v_add_co_u32 v13, vcc_lo, v4, 1
	v_add_co_ci_u32_e32 v14, vcc_lo, 0, v9, vcc_lo
	v_cmp_ne_u32_e32 vcc_lo, 0, v10
	v_cndmask_b32_e32 v8, v14, v12, vcc_lo
	v_cndmask_b32_e32 v10, v13, v11, vcc_lo
	v_cmp_ne_u32_e32 vcc_lo, 0, v7
	v_cndmask_b32_e32 v113, v9, v8, vcc_lo
	v_cndmask_b32_e32 v112, v4, v10, vcc_lo
.LBB0_4:                                ;   in Loop: Header=BB0_2 Depth=1
	s_andn2_saveexec_b32 s0, s1
	s_cbranch_execz .LBB0_6
; %bb.5:                                ;   in Loop: Header=BB0_2 Depth=1
	v_cvt_f32_u32_e32 v4, s24
	s_sub_i32 s1, 0, s24
	v_mov_b32_e32 v113, v3
	v_rcp_iflag_f32_e32 v4, v4
	v_mul_f32_e32 v4, 0x4f7ffffe, v4
	v_cvt_u32_f32_e32 v4, v4
	v_mul_lo_u32 v7, s1, v4
	v_mul_hi_u32 v7, v4, v7
	v_add_nc_u32_e32 v4, v4, v7
	v_mul_hi_u32 v4, v5, v4
	v_mul_lo_u32 v7, v4, s24
	v_add_nc_u32_e32 v8, 1, v4
	v_sub_nc_u32_e32 v7, v5, v7
	v_subrev_nc_u32_e32 v9, s24, v7
	v_cmp_le_u32_e32 vcc_lo, s24, v7
	v_cndmask_b32_e32 v7, v7, v9, vcc_lo
	v_cndmask_b32_e32 v4, v4, v8, vcc_lo
	v_cmp_le_u32_e32 vcc_lo, s24, v7
	v_add_nc_u32_e32 v8, 1, v4
	v_cndmask_b32_e32 v112, v4, v8, vcc_lo
.LBB0_6:                                ;   in Loop: Header=BB0_2 Depth=1
	s_or_b32 exec_lo, exec_lo, s0
	v_mul_lo_u32 v4, v113, s24
	v_mul_lo_u32 v9, v112, s25
	s_load_dwordx2 s[0:1], s[6:7], 0x0
	v_mad_u64_u32 v[7:8], null, v112, s24, 0
	s_load_dwordx2 s[24:25], s[2:3], 0x0
	s_add_u32 s22, s22, 1
	s_addc_u32 s23, s23, 0
	s_add_u32 s2, s2, 8
	s_addc_u32 s3, s3, 0
	s_add_u32 s6, s6, 8
	v_add3_u32 v4, v8, v9, v4
	v_sub_co_u32 v5, vcc_lo, v5, v7
	s_addc_u32 s7, s7, 0
	s_add_u32 s20, s20, 8
	v_sub_co_ci_u32_e32 v4, vcc_lo, v6, v4, vcc_lo
	s_addc_u32 s21, s21, 0
	s_waitcnt lgkmcnt(0)
	v_mul_lo_u32 v6, s0, v4
	v_mul_lo_u32 v7, s1, v5
	v_mad_u64_u32 v[1:2], null, s0, v5, v[1:2]
	v_mul_lo_u32 v4, s24, v4
	v_mul_lo_u32 v8, s25, v5
	v_mad_u64_u32 v[108:109], null, s24, v5, v[108:109]
	v_cmp_ge_u64_e64 s0, s[22:23], s[14:15]
	v_add3_u32 v2, v7, v2, v6
	v_add3_u32 v109, v8, v109, v4
	s_and_b32 vcc_lo, exec_lo, s0
	s_cbranch_vccnz .LBB0_9
; %bb.7:                                ;   in Loop: Header=BB0_2 Depth=1
	v_mov_b32_e32 v5, v112
	v_mov_b32_e32 v6, v113
	s_branch .LBB0_2
.LBB0_8:
	v_mov_b32_e32 v109, v2
	v_mov_b32_e32 v113, v6
	;; [unrolled: 1-line block ×4, first 2 shown]
.LBB0_9:
	s_load_dwordx2 s[0:1], s[4:5], 0x28
	v_mul_hi_u32 v3, 0x3333334, v0
	s_lshl_b64 s[4:5], s[14:15], 3
                                        ; implicit-def: $vgpr110
	s_add_u32 s2, s18, s4
	s_addc_u32 s3, s19, s5
	s_waitcnt lgkmcnt(0)
	v_cmp_gt_u64_e32 vcc_lo, s[0:1], v[112:113]
	v_cmp_le_u64_e64 s0, s[0:1], v[112:113]
	s_and_saveexec_b32 s1, s0
	s_xor_b32 s0, exec_lo, s1
; %bb.10:
	v_mul_u32_u24_e32 v1, 0x50, v3
                                        ; implicit-def: $vgpr3
	v_sub_nc_u32_e32 v110, v0, v1
                                        ; implicit-def: $vgpr0
                                        ; implicit-def: $vgpr1_vgpr2
; %bb.11:
	s_or_saveexec_b32 s1, s0
	s_load_dwordx2 s[2:3], s[2:3], 0x0
	s_xor_b32 exec_lo, exec_lo, s1
	s_cbranch_execz .LBB0_15
; %bb.12:
	s_add_u32 s4, s16, s4
	s_addc_u32 s5, s17, s5
	v_lshlrev_b64 v[1:2], 4, v[1:2]
	s_load_dwordx2 s[4:5], s[4:5], 0x0
	s_waitcnt lgkmcnt(0)
	v_mul_lo_u32 v6, s5, v112
	v_mul_lo_u32 v7, s4, v113
	v_mad_u64_u32 v[4:5], null, s4, v112, 0
	s_mov_b32 s4, exec_lo
	v_add3_u32 v5, v5, v7, v6
	v_mul_u32_u24_e32 v6, 0x50, v3
	v_lshlrev_b64 v[3:4], 4, v[4:5]
	v_sub_nc_u32_e32 v110, v0, v6
	v_lshlrev_b32_e32 v66, 4, v110
	v_add_co_u32 v0, s0, s8, v3
	v_add_co_ci_u32_e64 v3, s0, s9, v4, s0
	v_add_co_u32 v0, s0, v0, v1
	v_add_co_ci_u32_e64 v1, s0, v3, v2, s0
	v_or_b32_e32 v2, 0x2800, v66
	v_add_co_u32 v14, s0, v0, v66
	v_add_co_ci_u32_e64 v15, s0, 0, v1, s0
	v_add_co_u32 v10, s0, v0, v2
	v_add_co_ci_u32_e64 v11, s0, 0, v1, s0
	v_add_co_u32 v18, s0, 0x800, v14
	v_add_co_ci_u32_e64 v19, s0, 0, v15, s0
	v_add_co_u32 v22, s0, 0x1000, v14
	v_add_co_ci_u32_e64 v23, s0, 0, v15, s0
	v_add_co_u32 v30, s0, 0x1800, v14
	v_add_co_ci_u32_e64 v31, s0, 0, v15, s0
	v_add_co_u32 v34, s0, 0x2000, v14
	v_add_co_ci_u32_e64 v35, s0, 0, v15, s0
	v_add_co_u32 v38, s0, 0x2800, v14
	v_add_co_ci_u32_e64 v39, s0, 0, v15, s0
	v_add_co_u32 v46, s0, 0x3000, v14
	v_add_co_ci_u32_e64 v47, s0, 0, v15, s0
	v_add_co_u32 v50, s0, 0x3800, v14
	v_add_co_ci_u32_e64 v51, s0, 0, v15, s0
	v_add_co_u32 v58, s0, 0x4000, v14
	v_add_co_ci_u32_e64 v59, s0, 0, v15, s0
	v_add_co_u32 v62, s0, 0x4800, v14
	v_add_co_ci_u32_e64 v63, s0, 0, v15, s0
	s_clause 0xf
	global_load_dwordx4 v[2:5], v[14:15], off
	global_load_dwordx4 v[6:9], v[14:15], off offset:1280
	global_load_dwordx4 v[10:13], v[10:11], off
	global_load_dwordx4 v[14:17], v[18:19], off offset:512
	global_load_dwordx4 v[18:21], v[18:19], off offset:1792
	global_load_dwordx4 v[22:25], v[22:23], off offset:1024
	global_load_dwordx4 v[26:29], v[30:31], off offset:256
	global_load_dwordx4 v[30:33], v[30:31], off offset:1536
	global_load_dwordx4 v[34:37], v[34:35], off offset:768
	global_load_dwordx4 v[38:41], v[38:39], off offset:1280
	global_load_dwordx4 v[42:45], v[46:47], off offset:512
	global_load_dwordx4 v[46:49], v[46:47], off offset:1792
	global_load_dwordx4 v[50:53], v[50:51], off offset:1024
	global_load_dwordx4 v[54:57], v[58:59], off offset:256
	global_load_dwordx4 v[58:61], v[58:59], off offset:1536
	global_load_dwordx4 v[62:65], v[62:63], off offset:768
	v_add_nc_u32_e32 v66, 0, v66
	s_waitcnt vmcnt(15)
	ds_write_b128 v66, v[2:5]
	s_waitcnt vmcnt(14)
	ds_write_b128 v66, v[6:9] offset:1280
	s_waitcnt vmcnt(13)
	ds_write_b128 v66, v[10:13] offset:10240
	;; [unrolled: 2-line block ×15, first 2 shown]
	v_cmpx_eq_u32_e32 0x4f, v110
	s_cbranch_execz .LBB0_14
; %bb.13:
	v_add_co_u32 v0, s0, 0x5000, v0
	v_add_co_ci_u32_e64 v1, s0, 0, v1, s0
	v_mov_b32_e32 v4, 0
	v_mov_b32_e32 v110, 0x4f
	global_load_dwordx4 v[0:3], v[0:1], off
	s_waitcnt vmcnt(0)
	ds_write_b128 v4, v[0:3] offset:20480
.LBB0_14:
	s_or_b32 exec_lo, exec_lo, s4
.LBB0_15:
	s_or_b32 exec_lo, exec_lo, s1
	v_lshlrev_b32_e32 v0, 4, v110
	s_waitcnt lgkmcnt(0)
	s_barrier
	buffer_gl0_inv
	s_add_u32 s1, s12, 0x4f00
	v_add_nc_u32_e32 v116, 0, v0
	v_sub_nc_u32_e32 v10, 0, v0
	s_addc_u32 s4, s13, 0
	s_mov_b32 s5, exec_lo
                                        ; implicit-def: $vgpr4_vgpr5
	ds_read_b64 v[6:7], v116
	ds_read_b64 v[8:9], v10 offset:20480
	s_waitcnt lgkmcnt(0)
	v_add_f64 v[0:1], v[6:7], v[8:9]
	v_add_f64 v[2:3], v[6:7], -v[8:9]
	v_cmpx_ne_u32_e32 0, v110
	s_xor_b32 s5, exec_lo, s5
	s_cbranch_execz .LBB0_17
; %bb.16:
	v_mov_b32_e32 v111, 0
	v_add_f64 v[13:14], v[6:7], v[8:9]
	v_add_f64 v[15:16], v[6:7], -v[8:9]
	v_lshlrev_b64 v[0:1], 4, v[110:111]
	v_add_co_u32 v0, s0, s1, v0
	v_add_co_ci_u32_e64 v1, s0, s4, v1, s0
	global_load_dwordx4 v[2:5], v[0:1], off
	ds_read_b64 v[0:1], v10 offset:20488
	ds_read_b64 v[11:12], v116 offset:8
	s_waitcnt lgkmcnt(0)
	v_add_f64 v[6:7], v[0:1], v[11:12]
	v_add_f64 v[0:1], v[11:12], -v[0:1]
	s_waitcnt vmcnt(0)
	v_fma_f64 v[8:9], v[15:16], v[4:5], v[13:14]
	v_fma_f64 v[11:12], -v[15:16], v[4:5], v[13:14]
	v_fma_f64 v[13:14], v[6:7], v[4:5], -v[0:1]
	v_fma_f64 v[4:5], v[6:7], v[4:5], v[0:1]
	v_fma_f64 v[0:1], -v[6:7], v[2:3], v[8:9]
	v_fma_f64 v[6:7], v[6:7], v[2:3], v[11:12]
	v_fma_f64 v[8:9], v[15:16], v[2:3], v[13:14]
	;; [unrolled: 1-line block ×3, first 2 shown]
	v_mov_b32_e32 v4, v110
	v_mov_b32_e32 v5, v111
	ds_write_b128 v10, v[6:9] offset:20480
.LBB0_17:
	s_andn2_saveexec_b32 s0, s5
	s_cbranch_execz .LBB0_19
; %bb.18:
	v_mov_b32_e32 v8, 0
	ds_read_b128 v[4:7], v8 offset:10240
	s_waitcnt lgkmcnt(0)
	v_add_f64 v[11:12], v[4:5], v[4:5]
	v_mul_f64 v[13:14], v[6:7], -2.0
	v_mov_b32_e32 v4, 0
	v_mov_b32_e32 v5, 0
	ds_write_b128 v8, v[11:14] offset:10240
.LBB0_19:
	s_or_b32 exec_lo, exec_lo, s0
	v_lshlrev_b64 v[4:5], 4, v[4:5]
	s_mov_b32 s5, 0x3fe6a09e
	s_mov_b32 s6, 0xcf328d46
	;; [unrolled: 1-line block ×5, first 2 shown]
	v_add_co_u32 v27, s0, s1, v4
	v_add_co_ci_u32_e64 v28, s0, s4, v5, s0
	s_mov_b32 s8, 0xa6aea964
	v_add_co_u32 v8, s0, 0x800, v27
	global_load_dwordx4 v[4:7], v[27:28], off offset:1280
	v_add_co_ci_u32_e64 v9, s0, 0, v28, s0
	s_mov_b32 s9, 0xbfd87de2
	s_mov_b32 s15, 0x3fd87de2
	s_clause 0x1
	global_load_dwordx4 v[11:14], v[8:9], off offset:512
	global_load_dwordx4 v[15:18], v[8:9], off offset:1792
	v_add_co_u32 v8, s0, 0x1000, v27
	v_add_co_ci_u32_e64 v9, s0, 0, v28, s0
	ds_write_b128 v116, v[0:3]
	ds_read_b128 v[0:3], v116 offset:1280
	ds_read_b128 v[19:22], v10 offset:19200
	s_mov_b32 s14, s8
	global_load_dwordx4 v[23:26], v[8:9], off offset:1024
	s_waitcnt lgkmcnt(0)
	v_add_f64 v[8:9], v[0:1], v[19:20]
	v_add_f64 v[29:30], v[21:22], v[2:3]
	v_add_f64 v[19:20], v[0:1], -v[19:20]
	v_add_f64 v[0:1], v[2:3], -v[21:22]
	s_waitcnt vmcnt(3)
	v_fma_f64 v[2:3], v[19:20], v[6:7], v[8:9]
	v_fma_f64 v[21:22], v[29:30], v[6:7], v[0:1]
	v_fma_f64 v[8:9], -v[19:20], v[6:7], v[8:9]
	v_fma_f64 v[31:32], v[29:30], v[6:7], -v[0:1]
	v_fma_f64 v[0:1], -v[29:30], v[4:5], v[2:3]
	v_fma_f64 v[2:3], v[19:20], v[4:5], v[21:22]
	v_fma_f64 v[6:7], v[29:30], v[4:5], v[8:9]
	v_fma_f64 v[8:9], v[19:20], v[4:5], v[31:32]
	v_add_co_u32 v29, s0, 0x1800, v27
	v_add_co_ci_u32_e64 v30, s0, 0, v28, s0
	ds_write_b128 v116, v[0:3] offset:1280
	ds_write_b128 v10, v[6:9] offset:19200
	ds_read_b128 v[0:3], v116 offset:2560
	ds_read_b128 v[4:7], v10 offset:17920
	global_load_dwordx4 v[19:22], v[29:30], off offset:256
	s_waitcnt lgkmcnt(0)
	v_add_f64 v[8:9], v[0:1], v[4:5]
	v_add_f64 v[31:32], v[6:7], v[2:3]
	v_add_f64 v[33:34], v[0:1], -v[4:5]
	v_add_f64 v[0:1], v[2:3], -v[6:7]
	s_waitcnt vmcnt(3)
	v_fma_f64 v[2:3], v[33:34], v[13:14], v[8:9]
	v_fma_f64 v[4:5], v[31:32], v[13:14], v[0:1]
	v_fma_f64 v[6:7], -v[33:34], v[13:14], v[8:9]
	v_fma_f64 v[8:9], v[31:32], v[13:14], -v[0:1]
	v_fma_f64 v[0:1], -v[31:32], v[11:12], v[2:3]
	v_fma_f64 v[2:3], v[33:34], v[11:12], v[4:5]
	v_fma_f64 v[4:5], v[31:32], v[11:12], v[6:7]
	v_fma_f64 v[6:7], v[33:34], v[11:12], v[8:9]
	ds_write_b128 v116, v[0:3] offset:2560
	ds_write_b128 v10, v[4:7] offset:17920
	ds_read_b128 v[0:3], v116 offset:3840
	ds_read_b128 v[4:7], v10 offset:16640
	global_load_dwordx4 v[11:14], v[29:30], off offset:1536
	s_waitcnt lgkmcnt(0)
	v_add_f64 v[8:9], v[0:1], v[4:5]
	v_add_f64 v[29:30], v[6:7], v[2:3]
	v_add_f64 v[31:32], v[0:1], -v[4:5]
	v_add_f64 v[0:1], v[2:3], -v[6:7]
	s_waitcnt vmcnt(3)
	v_fma_f64 v[2:3], v[31:32], v[17:18], v[8:9]
	v_fma_f64 v[4:5], v[29:30], v[17:18], v[0:1]
	v_fma_f64 v[6:7], -v[31:32], v[17:18], v[8:9]
	v_fma_f64 v[8:9], v[29:30], v[17:18], -v[0:1]
	v_fma_f64 v[0:1], -v[29:30], v[15:16], v[2:3]
	v_fma_f64 v[2:3], v[31:32], v[15:16], v[4:5]
	v_fma_f64 v[4:5], v[29:30], v[15:16], v[6:7]
	;; [unrolled: 1-line block ×3, first 2 shown]
	v_add_co_u32 v8, s0, 0x2000, v27
	v_add_co_ci_u32_e64 v9, s0, 0, v28, s0
	s_mov_b32 s0, 0x667f3bcd
	s_mov_b32 s1, 0xbfe6a09e
	;; [unrolled: 1-line block ×3, first 2 shown]
	ds_write_b128 v116, v[0:3] offset:3840
	ds_write_b128 v10, v[4:7] offset:16640
	ds_read_b128 v[0:3], v116 offset:5120
	ds_read_b128 v[4:7], v10 offset:15360
	global_load_dwordx4 v[15:18], v[8:9], off offset:768
	s_waitcnt lgkmcnt(0)
	v_add_f64 v[8:9], v[0:1], v[4:5]
	v_add_f64 v[27:28], v[6:7], v[2:3]
	v_add_f64 v[29:30], v[0:1], -v[4:5]
	v_add_f64 v[0:1], v[2:3], -v[6:7]
	s_waitcnt vmcnt(3)
	v_fma_f64 v[2:3], v[29:30], v[25:26], v[8:9]
	v_fma_f64 v[4:5], v[27:28], v[25:26], v[0:1]
	v_fma_f64 v[6:7], -v[29:30], v[25:26], v[8:9]
	v_fma_f64 v[8:9], v[27:28], v[25:26], -v[0:1]
	v_fma_f64 v[0:1], -v[27:28], v[23:24], v[2:3]
	v_fma_f64 v[2:3], v[29:30], v[23:24], v[4:5]
	v_fma_f64 v[4:5], v[27:28], v[23:24], v[6:7]
	v_fma_f64 v[6:7], v[29:30], v[23:24], v[8:9]
	ds_write_b128 v116, v[0:3] offset:5120
	ds_write_b128 v10, v[4:7] offset:15360
	ds_read_b128 v[0:3], v116 offset:6400
	ds_read_b128 v[4:7], v10 offset:14080
	s_waitcnt lgkmcnt(0)
	v_add_f64 v[8:9], v[0:1], v[4:5]
	v_add_f64 v[23:24], v[6:7], v[2:3]
	v_add_f64 v[25:26], v[0:1], -v[4:5]
	v_add_f64 v[0:1], v[2:3], -v[6:7]
	s_waitcnt vmcnt(2)
	v_fma_f64 v[2:3], v[25:26], v[21:22], v[8:9]
	v_fma_f64 v[4:5], v[23:24], v[21:22], v[0:1]
	v_fma_f64 v[6:7], -v[25:26], v[21:22], v[8:9]
	v_fma_f64 v[8:9], v[23:24], v[21:22], -v[0:1]
	v_fma_f64 v[0:1], -v[23:24], v[19:20], v[2:3]
	v_fma_f64 v[2:3], v[25:26], v[19:20], v[4:5]
	v_fma_f64 v[4:5], v[23:24], v[19:20], v[6:7]
	v_fma_f64 v[6:7], v[25:26], v[19:20], v[8:9]
	ds_write_b128 v116, v[0:3] offset:6400
	ds_write_b128 v10, v[4:7] offset:14080
	ds_read_b128 v[0:3], v116 offset:7680
	ds_read_b128 v[4:7], v10 offset:12800
	;; [unrolled: 18-line block ×3, first 2 shown]
	s_waitcnt lgkmcnt(0)
	v_add_f64 v[8:9], v[0:1], v[4:5]
	v_add_f64 v[11:12], v[6:7], v[2:3]
	v_add_f64 v[13:14], v[0:1], -v[4:5]
	v_add_f64 v[0:1], v[2:3], -v[6:7]
	s_waitcnt vmcnt(0)
	v_fma_f64 v[2:3], v[13:14], v[17:18], v[8:9]
	v_fma_f64 v[4:5], v[11:12], v[17:18], v[0:1]
	v_fma_f64 v[6:7], -v[13:14], v[17:18], v[8:9]
	v_fma_f64 v[8:9], v[11:12], v[17:18], -v[0:1]
	v_fma_f64 v[0:1], -v[11:12], v[15:16], v[2:3]
	v_fma_f64 v[2:3], v[13:14], v[15:16], v[4:5]
	v_fma_f64 v[4:5], v[11:12], v[15:16], v[6:7]
	;; [unrolled: 1-line block ×3, first 2 shown]
	ds_write_b128 v116, v[0:3] offset:8960
	ds_write_b128 v10, v[4:7] offset:11520
	s_waitcnt lgkmcnt(0)
	s_barrier
	buffer_gl0_inv
	s_barrier
	buffer_gl0_inv
	ds_read_b128 v[0:3], v116 offset:10240
	ds_read_b128 v[4:7], v116 offset:5120
	;; [unrolled: 1-line block ×3, first 2 shown]
	ds_read_b128 v[12:15], v116
	ds_read_b128 v[16:19], v116 offset:12800
	ds_read_b128 v[20:23], v116 offset:1280
	;; [unrolled: 1-line block ×12, first 2 shown]
	s_waitcnt lgkmcnt(0)
	s_barrier
	buffer_gl0_inv
	v_add_f64 v[8:9], v[4:5], -v[8:9]
	v_add_f64 v[0:1], v[12:13], -v[0:1]
	;; [unrolled: 1-line block ×16, first 2 shown]
	v_fma_f64 v[4:5], v[4:5], 2.0, -v[8:9]
	v_fma_f64 v[12:13], v[12:13], 2.0, -v[0:1]
	v_add_f64 v[8:9], v[2:3], v[8:9]
	v_fma_f64 v[6:7], v[6:7], 2.0, -v[10:11]
	v_add_f64 v[10:11], v[0:1], -v[10:11]
	v_fma_f64 v[14:15], v[14:15], 2.0, -v[2:3]
	v_fma_f64 v[24:25], v[24:25], 2.0, -v[16:17]
	;; [unrolled: 1-line block ×4, first 2 shown]
	v_add_f64 v[34:35], v[16:17], -v[34:35]
	v_add_f64 v[32:33], v[18:19], v[32:33]
	v_add_f64 v[64:65], v[44:45], -v[54:55]
	v_fma_f64 v[26:27], v[26:27], 2.0, -v[18:19]
	v_add_f64 v[66:67], v[48:49], -v[62:63]
	v_add_f64 v[68:69], v[46:47], v[52:53]
	v_fma_f64 v[20:21], v[20:21], 2.0, -v[44:45]
	v_add_f64 v[70:71], v[50:51], v[60:61]
	v_fma_f64 v[22:23], v[22:23], 2.0, -v[46:47]
	v_fma_f64 v[40:41], v[40:41], 2.0, -v[52:53]
	;; [unrolled: 1-line block ×8, first 2 shown]
	v_add_f64 v[4:5], v[12:13], -v[4:5]
	v_fma_f64 v[0:1], v[0:1], 2.0, -v[10:11]
	v_add_f64 v[6:7], v[14:15], -v[6:7]
	v_add_f64 v[36:37], v[24:25], -v[36:37]
	v_fma_f64 v[16:17], v[16:17], 2.0, -v[34:35]
	v_fma_f64 v[18:19], v[18:19], 2.0, -v[32:33]
	;; [unrolled: 1-line block ×3, first 2 shown]
	v_add_f64 v[38:39], v[26:27], -v[38:39]
	v_fma_f64 v[48:49], v[48:49], 2.0, -v[66:67]
	v_fma_f64 v[46:47], v[46:47], 2.0, -v[68:69]
	v_fma_f64 v[56:57], v[66:67], s[4:5], v[64:65]
	v_fma_f64 v[50:51], v[50:51], 2.0, -v[70:71]
	v_fma_f64 v[58:59], v[70:71], s[4:5], v[68:69]
	v_add_f64 v[40:41], v[20:21], -v[40:41]
	v_add_f64 v[42:43], v[22:23], -v[42:43]
	v_fma_f64 v[60:61], v[34:35], s[4:5], v[10:11]
	v_fma_f64 v[62:63], v[32:33], s[4:5], v[8:9]
	v_add_f64 v[52:53], v[30:31], -v[52:53]
	v_add_f64 v[54:55], v[28:29], -v[54:55]
	v_fma_f64 v[12:13], v[12:13], 2.0, -v[4:5]
	v_fma_f64 v[14:15], v[14:15], 2.0, -v[6:7]
	;; [unrolled: 1-line block ×3, first 2 shown]
	v_add_f64 v[82:83], v[6:7], v[36:37]
	v_fma_f64 v[76:77], v[16:17], s[0:1], v[0:1]
	v_fma_f64 v[78:79], v[18:19], s[0:1], v[2:3]
	v_add_f64 v[80:81], v[4:5], -v[38:39]
	v_fma_f64 v[72:73], v[48:49], s[0:1], v[44:45]
	v_fma_f64 v[26:27], v[26:27], 2.0, -v[38:39]
	v_fma_f64 v[36:37], v[70:71], s[0:1], v[56:57]
	v_fma_f64 v[74:75], v[50:51], s[0:1], v[46:47]
	;; [unrolled: 1-line block ×3, first 2 shown]
	v_fma_f64 v[20:21], v[20:21], 2.0, -v[40:41]
	v_fma_f64 v[22:23], v[22:23], 2.0, -v[42:43]
	;; [unrolled: 1-line block ×3, first 2 shown]
	v_add_f64 v[86:87], v[42:43], v[54:55]
	v_fma_f64 v[28:29], v[28:29], 2.0, -v[54:55]
	v_add_f64 v[84:85], v[40:41], -v[52:53]
	v_fma_f64 v[52:53], v[32:33], s[0:1], v[60:61]
	v_fma_f64 v[54:55], v[34:35], s[4:5], v[62:63]
	v_fma_f64 v[61:62], v[6:7], 2.0, -v[82:83]
	v_fma_f64 v[57:58], v[18:19], s[0:1], v[76:77]
	v_fma_f64 v[59:60], v[16:17], s[4:5], v[78:79]
	;; [unrolled: 1-line block ×3, first 2 shown]
	v_add_f64 v[66:67], v[14:15], -v[26:27]
	v_fma_f64 v[26:27], v[64:65], 2.0, -v[36:37]
	v_fma_f64 v[34:35], v[48:49], s[4:5], v[74:75]
	v_fma_f64 v[49:50], v[4:5], 2.0, -v[80:81]
	v_add_f64 v[4:5], v[22:23], -v[30:31]
	v_fma_f64 v[17:18], v[42:43], 2.0, -v[86:87]
	v_add_f64 v[42:43], v[12:13], -v[24:25]
	v_add_f64 v[24:25], v[20:21], -v[28:29]
	v_fma_f64 v[40:41], v[40:41], 2.0, -v[84:85]
	v_fma_f64 v[28:29], v[68:69], 2.0, -v[38:39]
	;; [unrolled: 1-line block ×4, first 2 shown]
	v_fma_f64 v[74:75], v[38:39], s[16:17], v[54:55]
	v_fma_f64 v[70:71], v[0:1], 2.0, -v[57:58]
	v_fma_f64 v[72:73], v[2:3], 2.0, -v[59:60]
	v_fma_f64 v[0:1], v[84:85], s[4:5], v[80:81]
	v_fma_f64 v[2:3], v[86:87], s[4:5], v[82:83]
	v_fma_f64 v[44:45], v[44:45], 2.0, -v[32:33]
	v_fma_f64 v[78:79], v[14:15], 2.0, -v[66:67]
	v_fma_f64 v[92:93], v[32:33], s[14:15], v[57:58]
	v_fma_f64 v[30:31], v[46:47], 2.0, -v[34:35]
	v_fma_f64 v[46:47], v[36:37], s[16:17], v[52:53]
	v_fma_f64 v[94:95], v[34:35], s[14:15], v[59:60]
	v_fma_f64 v[15:16], v[22:23], 2.0, -v[4:5]
	v_fma_f64 v[76:77], v[12:13], 2.0, -v[42:43]
	;; [unrolled: 1-line block ×3, first 2 shown]
	v_fma_f64 v[19:20], v[40:41], s[0:1], v[49:50]
	v_fma_f64 v[21:22], v[17:18], s[0:1], v[61:62]
	;; [unrolled: 1-line block ×4, first 2 shown]
	v_add_f64 v[5:6], v[42:43], -v[4:5]
	v_add_f64 v[7:8], v[66:67], v[24:25]
	v_mad_u32_u24 v4, 0xf0, v110, v116
	v_fma_f64 v[9:10], v[86:87], s[0:1], v[0:1]
	v_fma_f64 v[11:12], v[84:85], s[4:5], v[2:3]
	;; [unrolled: 1-line block ×6, first 2 shown]
	v_add_f64 v[15:16], v[78:79], -v[15:16]
	v_add_f64 v[13:14], v[76:77], -v[13:14]
	v_fma_f64 v[17:18], v[17:18], s[0:1], v[19:20]
	v_fma_f64 v[19:20], v[40:41], s[4:5], v[21:22]
	;; [unrolled: 1-line block ×6, first 2 shown]
	v_fma_f64 v[33:34], v[42:43], 2.0, -v[5:6]
	v_fma_f64 v[35:36], v[66:67], 2.0, -v[7:8]
	;; [unrolled: 1-line block ×3, first 2 shown]
	v_fma_f64 v[29:30], v[30:31], s[8:9], v[96:97]
	v_fma_f64 v[39:40], v[82:83], 2.0, -v[11:12]
	v_cmp_gt_u32_e64 s0, 16, v110
	v_fma_f64 v[31:32], v[44:45], s[14:15], v[98:99]
	v_fma_f64 v[41:42], v[52:53], 2.0, -v[0:1]
	v_fma_f64 v[43:44], v[54:55], 2.0, -v[2:3]
	;; [unrolled: 1-line block ×12, first 2 shown]
	ds_write_b128 v4, v[5:8] offset:192
	ds_write_b128 v4, v[9:12] offset:224
	;; [unrolled: 1-line block ×10, first 2 shown]
	ds_write_b128 v4, v[45:48]
	ds_write_b128 v4, v[49:52] offset:32
	ds_write_b128 v4, v[53:56] offset:48
	;; [unrolled: 1-line block ×5, first 2 shown]
	s_waitcnt lgkmcnt(0)
	s_barrier
	buffer_gl0_inv
	ds_read_b128 v[32:35], v116
	ds_read_b128 v[24:27], v116 offset:1280
	ds_read_b128 v[88:91], v116 offset:8192
	;; [unrolled: 1-line block ×14, first 2 shown]
                                        ; implicit-def: $vgpr18_vgpr19
                                        ; implicit-def: $vgpr14_vgpr15
                                        ; implicit-def: $vgpr10_vgpr11
                                        ; implicit-def: $vgpr6_vgpr7
	s_and_saveexec_b32 s1, s0
	s_cbranch_execz .LBB0_21
; %bb.20:
	v_mad_i32_i24 v16, 0xffffff10, v110, v4
	ds_read_b128 v[0:3], v116 offset:3840
	ds_read_b128 v[4:7], v16 offset:7936
	;; [unrolled: 1-line block ×5, first 2 shown]
.LBB0_21:
	s_or_b32 exec_lo, exec_lo, s1
	v_lshlrev_b32_e32 v20, 6, v110
	v_and_b32_e32 v117, 15, v110
	v_lshrrev_b32_e32 v118, 4, v110
	v_add_nc_u32_e32 v119, 0x50, v110
	v_add_nc_u32_e32 v158, 0xa0, v110
	v_and_b32_e32 v111, 0x3c0, v20
	v_lshlrev_b32_e32 v48, 6, v117
	v_mul_u32_u24_e32 v159, 0x50, v118
	v_lshrrev_b32_e32 v160, 4, v119
	s_mov_b32 s6, 0x134454ff
	s_clause 0x7
	global_load_dwordx4 v[20:23], v111, s[12:13]
	global_load_dwordx4 v[36:39], v111, s[12:13] offset:16
	global_load_dwordx4 v[40:43], v111, s[12:13] offset:32
	;; [unrolled: 1-line block ×3, first 2 shown]
	global_load_dwordx2 v[114:115], v48, s[12:13]
	global_load_dwordx4 v[48:51], v111, s[12:13] offset:8
	global_load_dwordx4 v[72:75], v111, s[12:13] offset:24
	;; [unrolled: 1-line block ×3, first 2 shown]
	v_or_b32_e32 v170, v159, v117
	v_mul_u32_u24_e32 v171, 0x50, v160
	s_mov_b32 s7, 0x3fee6f0e
	s_mov_b32 s15, 0xbfee6f0e
	s_mov_b32 s14, s6
	s_mov_b32 s8, 0x4755a5e
	s_mov_b32 s9, 0x3fe2cf23
	s_mov_b32 s5, 0xbfe2cf23
	s_mov_b32 s4, s8
	s_mov_b32 s16, 0x372fe950
	s_mov_b32 s17, 0x3fd3c6ef
	s_waitcnt vmcnt(0) lgkmcnt(0)
	s_barrier
	buffer_gl0_inv
	v_mul_f64 v[118:119], v[102:103], v[22:23]
	v_mul_f64 v[120:121], v[100:101], v[22:23]
	;; [unrolled: 1-line block ×24, first 2 shown]
	v_fma_f64 v[100:101], v[100:101], v[114:115], -v[118:119]
	v_fma_f64 v[102:103], v[102:103], v[114:115], v[120:121]
	v_fma_f64 v[88:89], v[88:89], v[50:51], -v[122:123]
	v_fma_f64 v[90:91], v[90:91], v[50:51], v[124:125]
	v_fma_f64 v[104:105], v[104:105], v[74:75], -v[126:127]
	v_fma_f64 v[106:107], v[106:107], v[74:75], v[128:129]
	v_fma_f64 v[84:85], v[84:85], v[70:71], -v[130:131]
	v_fma_f64 v[86:87], v[86:87], v[70:71], v[132:133]
	v_fma_f64 v[92:93], v[92:93], v[114:115], -v[134:135]
	v_fma_f64 v[94:95], v[94:95], v[114:115], v[136:137]
	v_fma_f64 v[80:81], v[80:81], v[50:51], -v[138:139]
	v_fma_f64 v[82:83], v[82:83], v[50:51], v[140:141]
	v_fma_f64 v[96:97], v[96:97], v[74:75], -v[142:143]
	v_fma_f64 v[98:99], v[98:99], v[74:75], v[144:145]
	v_fma_f64 v[76:77], v[76:77], v[70:71], -v[146:147]
	v_fma_f64 v[78:79], v[78:79], v[70:71], v[148:149]
	v_fma_f64 v[56:57], v[56:57], v[114:115], -v[150:151]
	v_fma_f64 v[22:23], v[58:59], v[114:115], v[22:23]
	v_fma_f64 v[58:59], v[60:61], v[50:51], -v[152:153]
	v_fma_f64 v[38:39], v[62:63], v[50:51], v[38:39]
	v_fma_f64 v[50:51], v[64:65], v[74:75], -v[154:155]
	v_fma_f64 v[42:43], v[66:67], v[74:75], v[42:43]
	v_fma_f64 v[52:53], v[52:53], v[70:71], -v[156:157]
	v_fma_f64 v[46:47], v[54:55], v[70:71], v[46:47]
	v_lshrrev_b32_e32 v118, 4, v158
	v_add_f64 v[120:121], v[34:35], v[102:103]
	v_add_f64 v[54:55], v[88:89], v[104:105]
	;; [unrolled: 1-line block ×5, first 2 shown]
	v_mul_u32_u24_e32 v172, 0x50, v118
	v_add_f64 v[118:119], v[32:33], v[100:101]
	v_add_f64 v[126:127], v[102:103], -v[90:91]
	v_add_f64 v[132:133], v[86:87], -v[106:107]
	v_add_f64 v[66:67], v[80:81], v[96:97]
	v_add_f64 v[70:71], v[82:83], v[98:99]
	;; [unrolled: 1-line block ×4, first 2 shown]
	v_add_f64 v[134:135], v[102:103], -v[86:87]
	v_add_f64 v[102:103], v[90:91], -v[102:103]
	;; [unrolled: 1-line block ×3, first 2 shown]
	v_add_f64 v[128:129], v[24:25], v[92:93]
	v_add_f64 v[142:143], v[58:59], v[50:51]
	;; [unrolled: 1-line block ×7, first 2 shown]
	v_fma_f64 v[54:55], v[54:55], -0.5, v[32:33]
	v_add_f64 v[152:153], v[30:31], v[22:23]
	v_fma_f64 v[32:33], v[60:61], -0.5, v[32:33]
	v_fma_f64 v[60:61], v[62:63], -0.5, v[34:35]
	;; [unrolled: 1-line block ×3, first 2 shown]
	v_add_f64 v[62:63], v[94:95], -v[82:83]
	v_add_f64 v[64:65], v[78:79], -v[98:99]
	;; [unrolled: 1-line block ×9, first 2 shown]
	v_fma_f64 v[66:67], v[66:67], -0.5, v[24:25]
	v_fma_f64 v[70:71], v[70:71], -0.5, v[26:27]
	;; [unrolled: 1-line block ×4, first 2 shown]
	v_add_f64 v[74:75], v[82:83], -v[94:95]
	v_add_f64 v[114:115], v[98:99], -v[78:79]
	v_fma_f64 v[142:143], v[142:143], -0.5, v[28:29]
	v_fma_f64 v[28:29], v[144:145], -0.5, v[28:29]
	;; [unrolled: 1-line block ×4, first 2 shown]
	v_add_f64 v[148:149], v[38:39], -v[22:23]
	v_add_f64 v[126:127], v[126:127], v[132:133]
	v_add_f64 v[132:133], v[56:57], -v[58:59]
	v_add_f64 v[102:103], v[102:103], v[140:141]
	;; [unrolled: 2-line block ×4, first 2 shown]
	v_add_f64 v[118:119], v[120:121], v[90:91]
	v_add_f64 v[88:89], v[88:89], -v[104:105]
	v_add_f64 v[90:91], v[90:91], -v[106:107]
	v_add_f64 v[120:121], v[128:129], v[80:81]
	v_add_f64 v[128:129], v[130:131], v[82:83]
	;; [unrolled: 1-line block ×4, first 2 shown]
	v_add_f64 v[156:157], v[80:81], -v[92:93]
	v_add_f64 v[92:93], v[92:93], -v[76:77]
	;; [unrolled: 1-line block ×4, first 2 shown]
	v_add_f64 v[122:123], v[122:123], v[124:125]
	v_add_f64 v[124:125], v[46:47], -v[42:43]
	v_add_f64 v[80:81], v[80:81], -v[96:97]
	;; [unrolled: 1-line block ×3, first 2 shown]
	v_add_f64 v[100:101], v[100:101], v[138:139]
	v_add_f64 v[138:139], v[58:59], -v[56:57]
	v_add_f64 v[154:155], v[154:155], v[158:159]
	v_add_f64 v[158:159], v[50:51], -v[52:53]
	v_add_f64 v[152:153], v[22:23], -v[46:47]
	v_add_f64 v[38:39], v[38:39], -v[42:43]
	v_add_f64 v[56:57], v[56:57], -v[52:53]
	v_add_f64 v[58:59], v[58:59], -v[50:51]
	v_add_f64 v[160:161], v[96:97], -v[76:77]
	v_add_f64 v[114:115], v[74:75], v[114:115]
	v_add_f64 v[132:133], v[132:133], v[140:141]
	;; [unrolled: 1-line block ×5, first 2 shown]
	v_fma_f64 v[64:65], v[134:135], s[6:7], v[54:55]
	v_fma_f64 v[74:75], v[136:137], s[14:15], v[60:61]
	;; [unrolled: 1-line block ×5, first 2 shown]
	v_add_f64 v[32:33], v[130:131], v[42:43]
	v_add_f64 v[42:43], v[150:151], v[50:51]
	v_fma_f64 v[50:51], v[88:89], s[6:7], v[34:35]
	v_fma_f64 v[34:35], v[88:89], s[14:15], v[34:35]
	;; [unrolled: 1-line block ×3, first 2 shown]
	v_add_f64 v[96:97], v[120:121], v[96:97]
	v_add_f64 v[98:99], v[128:129], v[98:99]
	v_fma_f64 v[118:119], v[94:95], s[6:7], v[66:67]
	v_fma_f64 v[130:131], v[92:93], s[14:15], v[70:71]
	v_add_f64 v[124:125], v[146:147], v[124:125]
	v_fma_f64 v[66:67], v[94:95], s[14:15], v[66:67]
	v_fma_f64 v[120:121], v[82:83], s[14:15], v[24:25]
	;; [unrolled: 1-line block ×6, first 2 shown]
	v_add_f64 v[138:139], v[138:139], v[158:159]
	v_fma_f64 v[150:151], v[152:153], s[6:7], v[142:143]
	v_fma_f64 v[158:159], v[38:39], s[14:15], v[28:29]
	;; [unrolled: 1-line block ×4, first 2 shown]
	v_add_f64 v[156:157], v[156:157], v[160:161]
	v_fma_f64 v[160:161], v[38:39], s[6:7], v[28:29]
	v_fma_f64 v[166:167], v[58:59], s[14:15], v[30:31]
	;; [unrolled: 1-line block ×4, first 2 shown]
	v_add_f64 v[24:25], v[62:63], v[86:87]
	v_fma_f64 v[62:63], v[90:91], s[8:9], v[64:65]
	v_fma_f64 v[64:65], v[88:89], s[4:5], v[74:75]
	;; [unrolled: 1-line block ×3, first 2 shown]
	v_add_f64 v[30:31], v[42:43], v[52:53]
	v_fma_f64 v[42:43], v[134:135], s[8:9], v[104:105]
	v_fma_f64 v[74:75], v[136:137], s[4:5], v[50:51]
	v_add_f64 v[32:33], v[32:33], v[46:47]
	v_fma_f64 v[46:47], v[134:135], s[4:5], v[106:107]
	v_fma_f64 v[34:35], v[136:137], s[8:9], v[34:35]
	;; [unrolled: 1-line block ×3, first 2 shown]
	v_add_f64 v[26:27], v[96:97], v[76:77]
	v_add_f64 v[28:29], v[98:99], v[78:79]
	v_fma_f64 v[76:77], v[82:83], s[8:9], v[118:119]
	v_fma_f64 v[78:79], v[80:81], s[4:5], v[130:131]
	v_add_f64 v[22:23], v[22:23], v[84:85]
	v_fma_f64 v[66:67], v[82:83], s[4:5], v[66:67]
	v_fma_f64 v[82:83], v[94:95], s[8:9], v[120:121]
	;; [unrolled: 1-line block ×38, first 2 shown]
	v_or_b32_e32 v34, v171, v117
	v_or_b32_e32 v35, v172, v117
	v_lshl_add_u32 v38, v170, 4, 0
	v_lshl_add_u32 v34, v34, 4, 0
	;; [unrolled: 1-line block ×3, first 2 shown]
	ds_write_b128 v38, v[22:25]
	ds_write_b128 v38, v[50:53] offset:256
	ds_write_b128 v38, v[58:61] offset:512
	ds_write_b128 v38, v[62:65] offset:768
	ds_write_b128 v38, v[54:57] offset:1024
	ds_write_b128 v34, v[26:29]
	ds_write_b128 v34, v[74:77] offset:256
	ds_write_b128 v34, v[82:85] offset:512
	ds_write_b128 v34, v[86:89] offset:768
	ds_write_b128 v34, v[78:81] offset:1024
	ds_write_b128 v35, v[30:33]
	ds_write_b128 v35, v[90:93] offset:256
	ds_write_b128 v35, v[98:101] offset:512
	ds_write_b128 v35, v[102:105] offset:768
	ds_write_b128 v35, v[94:97] offset:1024
	s_and_saveexec_b32 s1, s0
	s_cbranch_execz .LBB0_23
; %bb.22:
	v_add_co_u32 v22, s0, s12, v111
	v_add_co_ci_u32_e64 v23, null, s13, 0, s0
	v_mul_f64 v[24:25], v[8:9], v[72:73]
	v_add_co_u32 v22, s0, v22, 48
	v_add_co_ci_u32_e64 v23, s0, 0, v23, s0
	v_mul_f64 v[26:27], v[12:13], v[68:69]
	v_mul_f64 v[28:29], v[10:11], v[72:73]
	;; [unrolled: 1-line block ×3, first 2 shown]
	global_load_dwordx2 v[22:23], v[22:23], off offset:8
	v_mul_f64 v[32:33], v[4:5], v[48:49]
	v_mul_f64 v[38:39], v[6:7], v[48:49]
	v_fma_f64 v[10:11], v[10:11], v[36:37], v[24:25]
	v_fma_f64 v[14:15], v[14:15], v[40:41], v[26:27]
	v_fma_f64 v[8:9], v[8:9], v[36:37], -v[28:29]
	v_fma_f64 v[12:13], v[12:13], v[40:41], -v[30:31]
	v_fma_f64 v[6:7], v[6:7], v[20:21], v[32:33]
	v_fma_f64 v[4:5], v[4:5], v[20:21], -v[38:39]
	v_add_f64 v[20:21], v[10:11], v[14:15]
	v_add_f64 v[32:33], v[8:9], -v[12:13]
	v_add_f64 v[28:29], v[2:3], v[6:7]
	v_add_f64 v[30:31], v[0:1], v[4:5]
	v_add_f64 v[38:39], v[8:9], -v[4:5]
	v_fma_f64 v[20:21], v[20:21], -0.5, v[2:3]
	s_waitcnt vmcnt(0)
	v_mul_f64 v[34:35], v[16:17], v[22:23]
	v_mul_f64 v[22:23], v[18:19], v[22:23]
	v_fma_f64 v[18:19], v[18:19], v[44:45], v[34:35]
	v_fma_f64 v[16:17], v[16:17], v[44:45], -v[22:23]
	v_add_f64 v[22:23], v[8:9], v[12:13]
	v_add_f64 v[24:25], v[6:7], v[18:19]
	;; [unrolled: 1-line block ×3, first 2 shown]
	v_add_f64 v[34:35], v[4:5], -v[16:17]
	v_fma_f64 v[22:23], v[22:23], -0.5, v[0:1]
	v_add_f64 v[36:37], v[6:7], -v[18:19]
	v_add_f64 v[4:5], v[4:5], -v[8:9]
	v_add_f64 v[8:9], v[30:31], v[8:9]
	v_add_f64 v[30:31], v[18:19], -v[14:15]
	v_add_f64 v[42:43], v[16:17], -v[12:13]
	;; [unrolled: 1-line block ×3, first 2 shown]
	v_fma_f64 v[2:3], v[24:25], -0.5, v[2:3]
	v_add_f64 v[24:25], v[10:11], -v[14:15]
	v_fma_f64 v[0:1], v[26:27], -0.5, v[0:1]
	v_add_f64 v[26:27], v[10:11], -v[6:7]
	v_add_f64 v[6:7], v[6:7], -v[10:11]
	v_add_f64 v[10:11], v[28:29], v[10:11]
	v_add_f64 v[28:29], v[14:15], -v[18:19]
	v_fma_f64 v[44:45], v[34:35], s[6:7], v[20:21]
	v_fma_f64 v[20:21], v[34:35], s[14:15], v[20:21]
	;; [unrolled: 1-line block ×4, first 2 shown]
	v_add_f64 v[8:9], v[8:9], v[12:13]
	v_add_f64 v[4:5], v[4:5], v[42:43]
	v_fma_f64 v[48:49], v[32:33], s[14:15], v[2:3]
	v_fma_f64 v[2:3], v[32:33], s[6:7], v[2:3]
	;; [unrolled: 1-line block ×4, first 2 shown]
	v_add_f64 v[10:11], v[10:11], v[14:15]
	v_add_f64 v[12:13], v[26:27], v[28:29]
	v_add_f64 v[14:15], v[6:7], v[30:31]
	v_fma_f64 v[20:21], v[32:33], s[4:5], v[20:21]
	v_fma_f64 v[28:29], v[24:25], s[8:9], v[46:47]
	v_add_f64 v[26:27], v[38:39], v[40:41]
	v_fma_f64 v[6:7], v[32:33], s[8:9], v[44:45]
	v_fma_f64 v[22:23], v[24:25], s[4:5], v[22:23]
	;; [unrolled: 1-line block ×6, first 2 shown]
	v_add_f64 v[0:1], v[8:9], v[16:17]
	v_add_f64 v[2:3], v[10:11], v[18:19]
	v_fma_f64 v[10:11], v[14:15], s[16:17], v[20:21]
	v_fma_f64 v[8:9], v[4:5], s[16:17], v[28:29]
	;; [unrolled: 1-line block ×8, first 2 shown]
	ds_write_b128 v116, v[0:3] offset:19200
	ds_write_b128 v116, v[8:11] offset:19456
	;; [unrolled: 1-line block ×5, first 2 shown]
.LBB0_23:
	s_or_b32 exec_lo, exec_lo, s1
	v_mul_u32_u24_e32 v0, 15, v110
	s_waitcnt lgkmcnt(0)
	s_barrier
	buffer_gl0_inv
	s_mov_b32 s0, 0x667f3bcd
	v_lshlrev_b32_e32 v56, 4, v0
	s_mov_b32 s1, 0xbfe6a09e
	s_mov_b32 s5, 0x3fe6a09e
	;; [unrolled: 1-line block ×4, first 2 shown]
	s_clause 0xe
	global_load_dwordx4 v[0:3], v56, s[12:13] offset:1024
	global_load_dwordx4 v[4:7], v56, s[12:13] offset:1040
	;; [unrolled: 1-line block ×15, first 2 shown]
	ds_read_b128 v[60:63], v116 offset:1280
	ds_read_b128 v[64:67], v116 offset:2560
	;; [unrolled: 1-line block ×15, first 2 shown]
	ds_read_b128 v[129:132], v116
	s_mov_b32 s7, 0xbfed906b
	s_mov_b32 s15, 0x3fed906b
	s_mov_b32 s14, s6
	s_mov_b32 s8, 0xa6aea964
	s_mov_b32 s9, 0xbfd87de2
	s_mov_b32 s13, 0x3fd87de2
	s_mov_b32 s12, s8
	s_waitcnt vmcnt(0) lgkmcnt(0)
	s_barrier
	buffer_gl0_inv
	v_mul_f64 v[114:115], v[62:63], v[2:3]
	v_mul_f64 v[2:3], v[60:61], v[2:3]
	v_mul_f64 v[133:134], v[66:67], v[6:7]
	v_mul_f64 v[6:7], v[64:65], v[6:7]
	v_mul_f64 v[135:136], v[70:71], v[10:11]
	v_mul_f64 v[10:11], v[68:69], v[10:11]
	v_mul_f64 v[137:138], v[74:75], v[14:15]
	v_mul_f64 v[14:15], v[72:73], v[14:15]
	v_mul_f64 v[139:140], v[78:79], v[18:19]
	v_mul_f64 v[18:19], v[76:77], v[18:19]
	v_mul_f64 v[141:142], v[82:83], v[22:23]
	v_mul_f64 v[22:23], v[80:81], v[22:23]
	v_mul_f64 v[143:144], v[86:87], v[26:27]
	v_mul_f64 v[26:27], v[84:85], v[26:27]
	v_mul_f64 v[145:146], v[90:91], v[30:31]
	v_mul_f64 v[30:31], v[88:89], v[30:31]
	v_mul_f64 v[147:148], v[94:95], v[34:35]
	v_mul_f64 v[34:35], v[92:93], v[34:35]
	v_mul_f64 v[149:150], v[98:99], v[38:39]
	v_mul_f64 v[38:39], v[96:97], v[38:39]
	v_mul_f64 v[151:152], v[106:107], v[42:43]
	v_mul_f64 v[42:43], v[104:105], v[42:43]
	v_mul_f64 v[153:154], v[123:124], v[46:47]
	v_mul_f64 v[46:47], v[121:122], v[46:47]
	v_mul_f64 v[155:156], v[102:103], v[50:51]
	v_mul_f64 v[50:51], v[100:101], v[50:51]
	v_mul_f64 v[157:158], v[119:120], v[54:55]
	v_mul_f64 v[54:55], v[117:118], v[54:55]
	v_mul_f64 v[159:160], v[125:126], v[58:59]
	v_mul_f64 v[58:59], v[127:128], v[58:59]
	v_fma_f64 v[60:61], v[60:61], v[0:1], -v[114:115]
	v_fma_f64 v[0:1], v[62:63], v[0:1], v[2:3]
	v_fma_f64 v[2:3], v[64:65], v[4:5], -v[133:134]
	v_fma_f64 v[4:5], v[66:67], v[4:5], v[6:7]
	v_fma_f64 v[6:7], v[68:69], v[8:9], -v[135:136]
	v_fma_f64 v[8:9], v[70:71], v[8:9], v[10:11]
	v_fma_f64 v[10:11], v[72:73], v[12:13], -v[137:138]
	v_fma_f64 v[12:13], v[74:75], v[12:13], v[14:15]
	v_fma_f64 v[14:15], v[76:77], v[16:17], -v[139:140]
	v_fma_f64 v[16:17], v[78:79], v[16:17], v[18:19]
	v_fma_f64 v[18:19], v[80:81], v[20:21], -v[141:142]
	v_fma_f64 v[20:21], v[82:83], v[20:21], v[22:23]
	v_fma_f64 v[22:23], v[84:85], v[24:25], -v[143:144]
	v_fma_f64 v[24:25], v[86:87], v[24:25], v[26:27]
	v_fma_f64 v[26:27], v[88:89], v[28:29], -v[145:146]
	v_fma_f64 v[28:29], v[90:91], v[28:29], v[30:31]
	v_fma_f64 v[30:31], v[104:105], v[40:41], -v[151:152]
	v_fma_f64 v[40:41], v[106:107], v[40:41], v[42:43]
	v_fma_f64 v[42:43], v[96:97], v[36:37], -v[149:150]
	v_fma_f64 v[36:37], v[98:99], v[36:37], v[38:39]
	v_fma_f64 v[38:39], v[121:122], v[44:45], -v[153:154]
	v_fma_f64 v[44:45], v[123:124], v[44:45], v[46:47]
	v_fma_f64 v[46:47], v[92:93], v[32:33], -v[147:148]
	v_fma_f64 v[32:33], v[94:95], v[32:33], v[34:35]
	v_fma_f64 v[34:35], v[117:118], v[52:53], -v[157:158]
	v_fma_f64 v[52:53], v[119:120], v[52:53], v[54:55]
	v_fma_f64 v[54:55], v[100:101], v[48:49], -v[155:156]
	v_fma_f64 v[48:49], v[102:103], v[48:49], v[50:51]
	v_fma_f64 v[50:51], v[127:128], v[56:57], v[159:160]
	v_fma_f64 v[56:57], v[125:126], v[56:57], -v[58:59]
	v_add_f64 v[26:27], v[129:130], -v[26:27]
	v_add_f64 v[28:29], v[131:132], -v[28:29]
	;; [unrolled: 1-line block ×16, first 2 shown]
	v_fma_f64 v[58:59], v[129:130], 2.0, -v[26:27]
	v_fma_f64 v[62:63], v[131:132], 2.0, -v[28:29]
	;; [unrolled: 1-line block ×3, first 2 shown]
	v_add_f64 v[64:65], v[26:27], -v[40:41]
	v_add_f64 v[30:31], v[28:29], v[30:31]
	v_fma_f64 v[12:13], v[12:13], 2.0, -v[40:41]
	v_add_f64 v[68:69], v[36:37], v[38:39]
	v_add_f64 v[66:67], v[42:43], -v[44:45]
	v_fma_f64 v[2:3], v[2:3], 2.0, -v[42:43]
	v_fma_f64 v[4:5], v[4:5], 2.0, -v[36:37]
	v_add_f64 v[72:73], v[32:33], v[34:35]
	v_add_f64 v[70:71], v[46:47], -v[52:53]
	v_fma_f64 v[18:19], v[18:19], 2.0, -v[38:39]
	v_fma_f64 v[20:21], v[20:21], 2.0, -v[44:45]
	v_add_f64 v[74:75], v[54:55], -v[50:51]
	v_add_f64 v[76:77], v[48:49], v[56:57]
	v_fma_f64 v[38:39], v[60:61], 2.0, -v[46:47]
	v_fma_f64 v[0:1], v[0:1], 2.0, -v[32:33]
	;; [unrolled: 1-line block ×8, first 2 shown]
	v_add_f64 v[10:11], v[58:59], -v[10:11]
	v_fma_f64 v[26:27], v[26:27], 2.0, -v[64:65]
	v_fma_f64 v[28:29], v[28:29], 2.0, -v[30:31]
	v_add_f64 v[12:13], v[62:63], -v[12:13]
	v_fma_f64 v[36:37], v[36:37], 2.0, -v[68:69]
	v_fma_f64 v[34:35], v[42:43], 2.0, -v[66:67]
	;; [unrolled: 1-line block ×4, first 2 shown]
	v_add_f64 v[18:19], v[2:3], -v[18:19]
	v_add_f64 v[20:21], v[4:5], -v[20:21]
	v_fma_f64 v[42:43], v[54:55], 2.0, -v[74:75]
	v_fma_f64 v[44:45], v[48:49], 2.0, -v[76:77]
	v_fma_f64 v[48:49], v[68:69], s[4:5], v[30:31]
	v_fma_f64 v[46:47], v[66:67], s[4:5], v[64:65]
	v_add_f64 v[14:15], v[38:39], -v[14:15]
	v_add_f64 v[16:17], v[0:1], -v[16:17]
	v_fma_f64 v[50:51], v[74:75], s[4:5], v[70:71]
	v_fma_f64 v[52:53], v[76:77], s[4:5], v[72:73]
	v_add_f64 v[22:23], v[6:7], -v[22:23]
	v_add_f64 v[24:25], v[8:9], -v[24:25]
	v_fma_f64 v[58:59], v[58:59], 2.0, -v[10:11]
	v_fma_f64 v[62:63], v[62:63], 2.0, -v[12:13]
	v_fma_f64 v[56:57], v[36:37], s[0:1], v[28:29]
	v_fma_f64 v[54:55], v[34:35], s[0:1], v[26:27]
	v_fma_f64 v[2:3], v[2:3], 2.0, -v[18:19]
	v_fma_f64 v[4:5], v[4:5], 2.0, -v[20:21]
	v_fma_f64 v[60:61], v[42:43], s[0:1], v[40:41]
	v_fma_f64 v[78:79], v[44:45], s[0:1], v[32:33]
	v_add_f64 v[80:81], v[10:11], -v[20:21]
	v_add_f64 v[82:83], v[12:13], v[18:19]
	v_fma_f64 v[38:39], v[38:39], 2.0, -v[14:15]
	v_fma_f64 v[0:1], v[0:1], 2.0, -v[16:17]
	v_fma_f64 v[48:49], v[66:67], s[4:5], v[48:49]
	v_fma_f64 v[46:47], v[68:69], s[0:1], v[46:47]
	v_fma_f64 v[6:7], v[6:7], 2.0, -v[22:23]
	v_fma_f64 v[8:9], v[8:9], 2.0, -v[24:25]
	v_add_f64 v[18:19], v[14:15], -v[24:25]
	v_add_f64 v[20:21], v[16:17], v[22:23]
	v_fma_f64 v[22:23], v[76:77], s[0:1], v[50:51]
	v_fma_f64 v[24:25], v[74:75], s[4:5], v[52:53]
	;; [unrolled: 1-line block ×6, first 2 shown]
	v_add_f64 v[42:43], v[58:59], -v[2:3]
	v_add_f64 v[44:45], v[62:63], -v[4:5]
	v_fma_f64 v[50:51], v[10:11], 2.0, -v[80:81]
	v_fma_f64 v[52:53], v[12:13], 2.0, -v[82:83]
	;; [unrolled: 1-line block ×4, first 2 shown]
	v_add_f64 v[2:3], v[38:39], -v[6:7]
	v_add_f64 v[4:5], v[0:1], -v[8:9]
	v_fma_f64 v[30:31], v[14:15], 2.0, -v[18:19]
	v_fma_f64 v[16:17], v[16:17], 2.0, -v[20:21]
	;; [unrolled: 1-line block ×6, first 2 shown]
	v_fma_f64 v[6:7], v[18:19], s[4:5], v[80:81]
	v_fma_f64 v[8:9], v[20:21], s[4:5], v[82:83]
	;; [unrolled: 1-line block ×4, first 2 shown]
	v_fma_f64 v[40:41], v[40:41], 2.0, -v[34:35]
	v_fma_f64 v[28:29], v[32:33], 2.0, -v[36:37]
	;; [unrolled: 1-line block ×4, first 2 shown]
	v_fma_f64 v[78:79], v[34:35], s[12:13], v[66:67]
	v_fma_f64 v[84:85], v[36:37], s[12:13], v[68:69]
	v_fma_f64 v[14:15], v[38:39], 2.0, -v[2:3]
	v_fma_f64 v[26:27], v[0:1], 2.0, -v[4:5]
	v_fma_f64 v[32:33], v[30:31], s[0:1], v[50:51]
	v_fma_f64 v[38:39], v[16:17], s[0:1], v[52:53]
	;; [unrolled: 1-line block ×4, first 2 shown]
	v_add_f64 v[0:1], v[42:43], -v[4:5]
	v_add_f64 v[2:3], v[44:45], v[2:3]
	v_fma_f64 v[4:5], v[20:21], s[0:1], v[6:7]
	v_fma_f64 v[6:7], v[18:19], s[4:5], v[8:9]
	;; [unrolled: 1-line block ×7, first 2 shown]
	v_add_f64 v[12:13], v[58:59], -v[14:15]
	v_add_f64 v[14:15], v[62:63], -v[26:27]
	v_fma_f64 v[16:17], v[16:17], s[0:1], v[32:33]
	v_fma_f64 v[18:19], v[30:31], s[4:5], v[38:39]
	;; [unrolled: 1-line block ×5, first 2 shown]
	v_fma_f64 v[32:33], v[42:43], 2.0, -v[0:1]
	v_fma_f64 v[34:35], v[44:45], 2.0, -v[2:3]
	;; [unrolled: 1-line block ×5, first 2 shown]
	v_fma_f64 v[28:29], v[28:29], s[8:9], v[86:87]
	v_fma_f64 v[30:31], v[40:41], s[12:13], v[88:89]
	v_fma_f64 v[40:41], v[46:47], 2.0, -v[8:9]
	v_fma_f64 v[44:45], v[58:59], 2.0, -v[12:13]
	;; [unrolled: 1-line block ×11, first 2 shown]
	ds_write_b128 v116, v[0:3] offset:15360
	ds_write_b128 v116, v[4:7] offset:17920
	;; [unrolled: 1-line block ×10, first 2 shown]
	ds_write_b128 v116, v[44:47]
	ds_write_b128 v116, v[48:51] offset:2560
	ds_write_b128 v116, v[52:55] offset:3840
	;; [unrolled: 1-line block ×5, first 2 shown]
	s_waitcnt lgkmcnt(0)
	s_barrier
	buffer_gl0_inv
	s_and_saveexec_b32 s0, vcc_lo
	s_cbranch_execz .LBB0_25
; %bb.24:
	v_mul_lo_u32 v2, s3, v112
	v_mul_lo_u32 v3, s2, v113
	v_mad_u64_u32 v[0:1], null, s2, v112, 0
	v_lshl_add_u32 v30, v110, 4, 0
	v_mov_b32_e32 v111, 0
	v_lshlrev_b64 v[8:9], 4, v[108:109]
	v_add_nc_u32_e32 v10, 0x50, v110
	v_add_nc_u32_e32 v16, 0xa0, v110
	;; [unrolled: 1-line block ×3, first 2 shown]
	v_add3_u32 v1, v1, v3, v2
	v_lshlrev_b64 v[14:15], 4, v[110:111]
	v_mov_b32_e32 v11, v111
	v_mov_b32_e32 v17, v111
	;; [unrolled: 1-line block ×3, first 2 shown]
	v_lshlrev_b64 v[12:13], 4, v[0:1]
	ds_read_b128 v[0:3], v30
	ds_read_b128 v[4:7], v30 offset:1280
	v_lshlrev_b64 v[22:23], 4, v[10:11]
	v_lshlrev_b64 v[16:17], 4, v[16:17]
	;; [unrolled: 1-line block ×3, first 2 shown]
	v_add_nc_u32_e32 v24, 0x140, v110
	v_add_co_u32 v12, vcc_lo, s10, v12
	v_add_co_ci_u32_e32 v13, vcc_lo, s11, v13, vcc_lo
	v_mov_b32_e32 v25, v111
	v_add_co_u32 v31, vcc_lo, v12, v8
	v_add_co_ci_u32_e32 v32, vcc_lo, v13, v9, vcc_lo
	v_add_nc_u32_e32 v28, 0x190, v110
	v_add_co_u32 v20, vcc_lo, v31, v14
	v_add_co_ci_u32_e32 v21, vcc_lo, v32, v15, vcc_lo
	ds_read_b128 v[8:11], v30 offset:2560
	ds_read_b128 v[12:15], v30 offset:3840
	v_mov_b32_e32 v29, v111
	v_lshlrev_b64 v[24:25], 4, v[24:25]
	s_waitcnt lgkmcnt(3)
	global_store_dwordx4 v[20:21], v[0:3], off
	v_add_co_u32 v20, vcc_lo, v31, v22
	v_add_co_ci_u32_e32 v21, vcc_lo, v32, v23, vcc_lo
	v_add_co_u32 v22, vcc_lo, v31, v16
	v_add_co_ci_u32_e32 v23, vcc_lo, v32, v17, vcc_lo
	v_add_co_u32 v26, vcc_lo, v31, v18
	ds_read_b128 v[0:3], v30 offset:5120
	v_add_co_ci_u32_e32 v27, vcc_lo, v32, v19, vcc_lo
	ds_read_b128 v[16:19], v30 offset:6400
	s_waitcnt lgkmcnt(4)
	global_store_dwordx4 v[20:21], v[4:7], off
	s_waitcnt lgkmcnt(3)
	global_store_dwordx4 v[22:23], v[8:11], off
	;; [unrolled: 2-line block ×3, first 2 shown]
	v_lshlrev_b64 v[4:5], 4, v[28:29]
	v_add_co_u32 v6, vcc_lo, v31, v24
	v_add_co_ci_u32_e32 v7, vcc_lo, v32, v25, vcc_lo
	v_add_nc_u32_e32 v8, 0x1e0, v110
	v_add_co_u32 v4, vcc_lo, v31, v4
	v_add_co_ci_u32_e32 v5, vcc_lo, v32, v5, vcc_lo
	v_mov_b32_e32 v9, v111
	v_add_nc_u32_e32 v10, 0x230, v110
	v_mov_b32_e32 v11, v111
	s_waitcnt lgkmcnt(1)
	global_store_dwordx4 v[6:7], v[0:3], off
	v_add_nc_u32_e32 v28, 0x320, v110
	v_lshlrev_b64 v[12:13], 4, v[8:9]
	s_waitcnt lgkmcnt(0)
	global_store_dwordx4 v[4:5], v[16:19], off
	ds_read_b128 v[0:3], v30 offset:7680
	ds_read_b128 v[4:7], v30 offset:8960
	v_lshlrev_b64 v[14:15], 4, v[10:11]
	ds_read_b128 v[8:11], v30 offset:10240
	v_add_nc_u32_e32 v16, 0x280, v110
	v_mov_b32_e32 v17, v111
	v_add_co_u32 v20, vcc_lo, v31, v12
	v_add_co_ci_u32_e32 v21, vcc_lo, v32, v13, vcc_lo
	v_lshlrev_b64 v[12:13], 4, v[16:17]
	v_add_nc_u32_e32 v16, 0x2d0, v110
	v_add_co_u32 v22, vcc_lo, v31, v14
	v_add_co_ci_u32_e32 v23, vcc_lo, v32, v15, vcc_lo
	v_lshlrev_b64 v[26:27], 4, v[16:17]
	ds_read_b128 v[16:19], v30 offset:12800
	v_add_co_u32 v24, vcc_lo, v31, v12
	v_add_co_ci_u32_e32 v25, vcc_lo, v32, v13, vcc_lo
	ds_read_b128 v[12:15], v30 offset:11520
	s_waitcnt lgkmcnt(4)
	global_store_dwordx4 v[20:21], v[0:3], off
	s_waitcnt lgkmcnt(3)
	global_store_dwordx4 v[22:23], v[4:7], off
	;; [unrolled: 2-line block ×3, first 2 shown]
	v_lshlrev_b64 v[0:1], 4, v[28:29]
	v_add_co_u32 v2, vcc_lo, v31, v26
	v_add_co_ci_u32_e32 v3, vcc_lo, v32, v27, vcc_lo
	v_add_nc_u32_e32 v4, 0x370, v110
	v_mov_b32_e32 v5, v111
	v_add_co_u32 v6, vcc_lo, v31, v0
	v_add_co_ci_u32_e32 v7, vcc_lo, v32, v1, vcc_lo
	v_add_nc_u32_e32 v8, 0x3c0, v110
	v_mov_b32_e32 v9, v111
	v_lshlrev_b64 v[4:5], 4, v[4:5]
	s_waitcnt lgkmcnt(1)
	global_store_dwordx4 v[6:7], v[16:19], off
	v_add_nc_u32_e32 v24, 0x460, v110
	v_mov_b32_e32 v25, v111
	v_lshlrev_b64 v[6:7], 4, v[8:9]
	s_waitcnt lgkmcnt(0)
	global_store_dwordx4 v[2:3], v[12:15], off
	v_add_co_u32 v20, vcc_lo, v31, v4
	v_add_nc_u32_e32 v12, 0x410, v110
	v_mov_b32_e32 v13, v111
	v_add_co_ci_u32_e32 v21, vcc_lo, v32, v5, vcc_lo
	v_add_co_u32 v22, vcc_lo, v31, v6
	ds_read_b128 v[0:3], v30 offset:14080
	v_add_co_ci_u32_e32 v23, vcc_lo, v32, v7, vcc_lo
	ds_read_b128 v[4:7], v30 offset:15360
	ds_read_b128 v[8:11], v30 offset:16640
	v_lshlrev_b64 v[26:27], 4, v[12:13]
	ds_read_b128 v[12:15], v30 offset:17920
	ds_read_b128 v[16:19], v30 offset:19200
	v_add_nc_u32_e32 v110, 0x4b0, v110
	v_lshlrev_b64 v[24:25], 4, v[24:25]
	v_add_co_u32 v26, vcc_lo, v31, v26
	v_lshlrev_b64 v[28:29], 4, v[110:111]
	v_add_co_ci_u32_e32 v27, vcc_lo, v32, v27, vcc_lo
	v_add_co_u32 v24, vcc_lo, v31, v24
	v_add_co_ci_u32_e32 v25, vcc_lo, v32, v25, vcc_lo
	v_add_co_u32 v28, vcc_lo, v31, v28
	v_add_co_ci_u32_e32 v29, vcc_lo, v32, v29, vcc_lo
	s_waitcnt lgkmcnt(4)
	global_store_dwordx4 v[20:21], v[0:3], off
	s_waitcnt lgkmcnt(3)
	global_store_dwordx4 v[22:23], v[4:7], off
	;; [unrolled: 2-line block ×5, first 2 shown]
.LBB0_25:
	s_endpgm
	.section	.rodata,"a",@progbits
	.p2align	6, 0x0
	.amdhsa_kernel fft_rtc_fwd_len1280_factors_16_5_16_wgs_80_tpt_80_halfLds_dp_op_CI_CI_unitstride_sbrr_C2R_dirReg
		.amdhsa_group_segment_fixed_size 0
		.amdhsa_private_segment_fixed_size 0
		.amdhsa_kernarg_size 104
		.amdhsa_user_sgpr_count 6
		.amdhsa_user_sgpr_private_segment_buffer 1
		.amdhsa_user_sgpr_dispatch_ptr 0
		.amdhsa_user_sgpr_queue_ptr 0
		.amdhsa_user_sgpr_kernarg_segment_ptr 1
		.amdhsa_user_sgpr_dispatch_id 0
		.amdhsa_user_sgpr_flat_scratch_init 0
		.amdhsa_user_sgpr_private_segment_size 0
		.amdhsa_wavefront_size32 1
		.amdhsa_uses_dynamic_stack 0
		.amdhsa_system_sgpr_private_segment_wavefront_offset 0
		.amdhsa_system_sgpr_workgroup_id_x 1
		.amdhsa_system_sgpr_workgroup_id_y 0
		.amdhsa_system_sgpr_workgroup_id_z 0
		.amdhsa_system_sgpr_workgroup_info 0
		.amdhsa_system_vgpr_workitem_id 0
		.amdhsa_next_free_vgpr 173
		.amdhsa_next_free_sgpr 27
		.amdhsa_reserve_vcc 1
		.amdhsa_reserve_flat_scratch 0
		.amdhsa_float_round_mode_32 0
		.amdhsa_float_round_mode_16_64 0
		.amdhsa_float_denorm_mode_32 3
		.amdhsa_float_denorm_mode_16_64 3
		.amdhsa_dx10_clamp 1
		.amdhsa_ieee_mode 1
		.amdhsa_fp16_overflow 0
		.amdhsa_workgroup_processor_mode 1
		.amdhsa_memory_ordered 1
		.amdhsa_forward_progress 0
		.amdhsa_shared_vgpr_count 0
		.amdhsa_exception_fp_ieee_invalid_op 0
		.amdhsa_exception_fp_denorm_src 0
		.amdhsa_exception_fp_ieee_div_zero 0
		.amdhsa_exception_fp_ieee_overflow 0
		.amdhsa_exception_fp_ieee_underflow 0
		.amdhsa_exception_fp_ieee_inexact 0
		.amdhsa_exception_int_div_zero 0
	.end_amdhsa_kernel
	.text
.Lfunc_end0:
	.size	fft_rtc_fwd_len1280_factors_16_5_16_wgs_80_tpt_80_halfLds_dp_op_CI_CI_unitstride_sbrr_C2R_dirReg, .Lfunc_end0-fft_rtc_fwd_len1280_factors_16_5_16_wgs_80_tpt_80_halfLds_dp_op_CI_CI_unitstride_sbrr_C2R_dirReg
                                        ; -- End function
	.section	.AMDGPU.csdata,"",@progbits
; Kernel info:
; codeLenInByte = 11048
; NumSgprs: 29
; NumVgprs: 173
; ScratchSize: 0
; MemoryBound: 0
; FloatMode: 240
; IeeeMode: 1
; LDSByteSize: 0 bytes/workgroup (compile time only)
; SGPRBlocks: 3
; VGPRBlocks: 21
; NumSGPRsForWavesPerEU: 29
; NumVGPRsForWavesPerEU: 173
; Occupancy: 5
; WaveLimiterHint : 1
; COMPUTE_PGM_RSRC2:SCRATCH_EN: 0
; COMPUTE_PGM_RSRC2:USER_SGPR: 6
; COMPUTE_PGM_RSRC2:TRAP_HANDLER: 0
; COMPUTE_PGM_RSRC2:TGID_X_EN: 1
; COMPUTE_PGM_RSRC2:TGID_Y_EN: 0
; COMPUTE_PGM_RSRC2:TGID_Z_EN: 0
; COMPUTE_PGM_RSRC2:TIDIG_COMP_CNT: 0
	.text
	.p2alignl 6, 3214868480
	.fill 48, 4, 3214868480
	.type	__hip_cuid_a041b36a4613c399,@object ; @__hip_cuid_a041b36a4613c399
	.section	.bss,"aw",@nobits
	.globl	__hip_cuid_a041b36a4613c399
__hip_cuid_a041b36a4613c399:
	.byte	0                               ; 0x0
	.size	__hip_cuid_a041b36a4613c399, 1

	.ident	"AMD clang version 19.0.0git (https://github.com/RadeonOpenCompute/llvm-project roc-6.4.0 25133 c7fe45cf4b819c5991fe208aaa96edf142730f1d)"
	.section	".note.GNU-stack","",@progbits
	.addrsig
	.addrsig_sym __hip_cuid_a041b36a4613c399
	.amdgpu_metadata
---
amdhsa.kernels:
  - .args:
      - .actual_access:  read_only
        .address_space:  global
        .offset:         0
        .size:           8
        .value_kind:     global_buffer
      - .offset:         8
        .size:           8
        .value_kind:     by_value
      - .actual_access:  read_only
        .address_space:  global
        .offset:         16
        .size:           8
        .value_kind:     global_buffer
      - .actual_access:  read_only
        .address_space:  global
        .offset:         24
        .size:           8
        .value_kind:     global_buffer
      - .actual_access:  read_only
        .address_space:  global
        .offset:         32
        .size:           8
        .value_kind:     global_buffer
      - .offset:         40
        .size:           8
        .value_kind:     by_value
      - .actual_access:  read_only
        .address_space:  global
        .offset:         48
        .size:           8
        .value_kind:     global_buffer
      - .actual_access:  read_only
        .address_space:  global
        .offset:         56
        .size:           8
        .value_kind:     global_buffer
      - .offset:         64
        .size:           4
        .value_kind:     by_value
      - .actual_access:  read_only
        .address_space:  global
        .offset:         72
        .size:           8
        .value_kind:     global_buffer
      - .actual_access:  read_only
        .address_space:  global
        .offset:         80
        .size:           8
        .value_kind:     global_buffer
      - .actual_access:  read_only
        .address_space:  global
        .offset:         88
        .size:           8
        .value_kind:     global_buffer
      - .actual_access:  write_only
        .address_space:  global
        .offset:         96
        .size:           8
        .value_kind:     global_buffer
    .group_segment_fixed_size: 0
    .kernarg_segment_align: 8
    .kernarg_segment_size: 104
    .language:       OpenCL C
    .language_version:
      - 2
      - 0
    .max_flat_workgroup_size: 80
    .name:           fft_rtc_fwd_len1280_factors_16_5_16_wgs_80_tpt_80_halfLds_dp_op_CI_CI_unitstride_sbrr_C2R_dirReg
    .private_segment_fixed_size: 0
    .sgpr_count:     29
    .sgpr_spill_count: 0
    .symbol:         fft_rtc_fwd_len1280_factors_16_5_16_wgs_80_tpt_80_halfLds_dp_op_CI_CI_unitstride_sbrr_C2R_dirReg.kd
    .uniform_work_group_size: 1
    .uses_dynamic_stack: false
    .vgpr_count:     173
    .vgpr_spill_count: 0
    .wavefront_size: 32
    .workgroup_processor_mode: 1
amdhsa.target:   amdgcn-amd-amdhsa--gfx1030
amdhsa.version:
  - 1
  - 2
...

	.end_amdgpu_metadata
